;; amdgpu-corpus repo=ROCm/rocFFT kind=compiled arch=gfx906 opt=O3
	.text
	.amdgcn_target "amdgcn-amd-amdhsa--gfx906"
	.amdhsa_code_object_version 6
	.protected	fft_rtc_fwd_len49_factors_7_7_wgs_196_tpt_7_sp_op_CI_CI_sbrc_xy_z_unaligned ; -- Begin function fft_rtc_fwd_len49_factors_7_7_wgs_196_tpt_7_sp_op_CI_CI_sbrc_xy_z_unaligned
	.globl	fft_rtc_fwd_len49_factors_7_7_wgs_196_tpt_7_sp_op_CI_CI_sbrc_xy_z_unaligned
	.p2align	8
	.type	fft_rtc_fwd_len49_factors_7_7_wgs_196_tpt_7_sp_op_CI_CI_sbrc_xy_z_unaligned,@function
fft_rtc_fwd_len49_factors_7_7_wgs_196_tpt_7_sp_op_CI_CI_sbrc_xy_z_unaligned: ; @fft_rtc_fwd_len49_factors_7_7_wgs_196_tpt_7_sp_op_CI_CI_sbrc_xy_z_unaligned
; %bb.0:
	s_load_dwordx4 s[8:11], s[4:5], 0x10
	s_load_dwordx2 s[24:25], s[4:5], 0x20
	s_mov_b32 s7, 0
	s_mov_b32 s13, s7
	s_waitcnt lgkmcnt(0)
	s_load_dwordx4 s[0:3], s[8:9], 0x8
	s_load_dwordx4 s[16:19], s[10:11], 0x0
	s_load_dwordx2 s[20:21], s[10:11], 0x10
	s_waitcnt lgkmcnt(0)
	s_add_i32 s3, s2, -1
	s_lshr_b32 s3, s3, 2
	s_mul_hi_u32 s3, s3, 0x24924925
	s_add_i32 s3, s3, 1
	s_mul_i32 s3, s3, s0
	v_cvt_f32_u32_e32 v1, s3
	s_sub_i32 s8, 0, s3
	v_rcp_iflag_f32_e32 v1, v1
	v_mul_f32_e32 v1, 0x4f7ffffe, v1
	v_cvt_u32_f32_e32 v3, v1
	v_mov_b32_e32 v2, s1
	v_mov_b32_e32 v1, s0
	v_readfirstlane_b32 s9, v3
	s_mul_i32 s8, s8, s9
	s_mul_hi_u32 s8, s9, s8
	s_add_i32 s9, s9, s8
	s_mul_hi_u32 s8, s6, s9
	s_mul_i32 s9, s8, s3
	s_sub_i32 s9, s6, s9
	s_add_i32 s12, s8, 1
	s_sub_i32 s14, s9, s3
	s_cmp_ge_u32 s9, s3
	s_cselect_b32 s8, s12, s8
	s_cselect_b32 s9, s14, s9
	s_add_i32 s12, s8, 1
	s_cmp_ge_u32 s9, s3
	s_cselect_b32 s21, s12, s8
	s_mul_i32 s3, s21, s3
	s_sub_i32 s12, s6, s3
	v_cmp_lt_u64_e32 vcc, s[12:13], v[1:2]
	v_cvt_f32_u32_e32 v1, s0
	s_mov_b64 s[8:9], 0
	s_cbranch_vccnz .LBB0_2
; %bb.1:
	v_rcp_iflag_f32_e32 v2, v1
	s_sub_i32 s3, 0, s0
	v_mul_f32_e32 v2, 0x4f7ffffe, v2
	v_cvt_u32_f32_e32 v2, v2
	v_readfirstlane_b32 s8, v2
	s_mul_i32 s3, s3, s8
	s_mul_hi_u32 s3, s8, s3
	s_add_i32 s8, s8, s3
	s_mul_hi_u32 s3, s12, s8
	s_mul_i32 s9, s3, s0
	s_sub_i32 s9, s12, s9
	s_add_i32 s8, s3, 1
	s_sub_i32 s12, s9, s0
	s_cmp_ge_u32 s9, s0
	s_cselect_b32 s3, s8, s3
	s_cselect_b32 s9, s12, s9
	s_add_i32 s8, s3, 1
	s_cmp_ge_u32 s9, s0
	s_cselect_b32 s8, s8, s3
.LBB0_2:
	s_load_dwordx2 s[22:23], s[4:5], 0x58
	v_mov_b32_e32 v3, s1
	v_mov_b32_e32 v2, s0
	v_cmp_lt_u64_e32 vcc, s[6:7], v[2:3]
	s_cbranch_vccnz .LBB0_4
; %bb.3:
	v_rcp_iflag_f32_e32 v1, v1
	s_sub_i32 s1, 0, s0
	v_mul_f32_e32 v1, 0x4f7ffffe, v1
	v_cvt_u32_f32_e32 v1, v1
	v_readfirstlane_b32 s3, v1
	s_mul_i32 s1, s1, s3
	s_mul_hi_u32 s1, s3, s1
	s_add_i32 s3, s3, s1
	s_mul_hi_u32 s1, s6, s3
	s_mul_i32 s1, s1, s0
	s_sub_i32 s1, s6, s1
	s_sub_i32 s3, s1, s0
	s_cmp_ge_u32 s1, s0
	s_cselect_b32 s1, s3, s1
	s_sub_i32 s3, s1, s0
	s_cmp_ge_u32 s1, s0
	s_cselect_b32 s6, s3, s1
.LBB0_4:
	s_load_dwordx4 s[12:15], s[4:5], 0x0
	s_mul_i32 s7, s8, 28
	s_mul_i32 s0, s6, s18
	s_mul_i32 s1, s7, s20
	s_add_i32 s3, s0, s1
	s_waitcnt lgkmcnt(0)
	s_lshl_b64 s[0:1], s[14:15], 3
	s_add_u32 s18, s10, s0
	s_addc_u32 s19, s11, s1
	s_load_dwordx2 s[26:27], s[18:19], 0x0
	s_load_dwordx4 s[8:11], s[24:25], 0x0
	s_load_dwordx2 s[14:15], s[24:25], 0x10
	v_mul_u32_u24_e32 v1, 0x53a, v0
	v_lshrrev_b32_e32 v3, 16, v1
	s_waitcnt lgkmcnt(0)
	s_mul_i32 s11, s27, s21
	s_mul_hi_u32 s15, s26, s21
	s_mul_i32 s18, s26, s21
	s_add_i32 s15, s15, s11
	s_add_u32 s26, s18, s3
	s_addc_u32 s27, s15, 0
	s_add_u32 s0, s24, s0
	s_addc_u32 s1, s25, s1
	s_load_dwordx2 s[0:1], s[0:1], 0x0
	s_add_i32 s3, s7, 28
	s_cmp_le_u32 s3, s2
	s_cselect_b64 s[18:19], -1, 0
	v_mul_lo_u16_e32 v1, 49, v3
	v_sub_u16_e32 v4, v0, v1
	s_mov_b64 s[24:25], -1
	s_and_b64 vcc, exec, s[18:19]
	s_cbranch_vccnz .LBB0_9
; %bb.5:
	v_add_u32_e32 v5, s7, v3
	v_cmp_gt_u32_e32 vcc, s2, v5
	s_and_saveexec_b64 s[24:25], vcc
	s_cbranch_execz .LBB0_8
; %bb.6:
	v_mad_u64_u32 v[1:2], s[28:29], s16, v4, 0
	s_lshl_b64 s[28:29], s[26:27], 3
	s_add_u32 s3, s22, s28
	v_mad_u64_u32 v[6:7], s[30:31], s17, v4, v[2:3]
	s_addc_u32 s11, s23, s29
	v_mov_b32_e32 v7, s11
	v_mov_b32_e32 v2, v6
	v_lshlrev_b64 v[1:2], 3, v[1:2]
	s_lshl_b32 s11, s20, 2
	v_add_co_u32_e32 v6, vcc, s3, v1
	v_addc_co_u32_e32 v7, vcc, v7, v2, vcc
	v_mul_u32_u24_e32 v1, 0x188, v3
	v_lshlrev_b32_e32 v2, 3, v4
	v_add3_u32 v8, v1, v2, 0
	v_mul_lo_u32 v1, v3, s20
	s_mov_b32 s3, 0
	s_mov_b64 s[28:29], 0
	v_mov_b32_e32 v2, 0
.LBB0_7:                                ; =>This Inner Loop Header: Depth=1
	v_lshlrev_b64 v[9:10], 3, v[1:2]
	s_add_i32 s3, s3, 4
	v_add_co_u32_e32 v9, vcc, v6, v9
	v_addc_co_u32_e32 v10, vcc, v7, v10, vcc
	global_load_dwordx2 v[9:10], v[9:10], off
	v_add_u32_e32 v11, s3, v5
	v_cmp_le_u32_e32 vcc, s2, v11
	v_add_u32_e32 v1, s11, v1
	s_or_b64 s[28:29], vcc, s[28:29]
	s_waitcnt vmcnt(0)
	ds_write_b64 v8, v[9:10]
	v_add_u32_e32 v8, 0x620, v8
	s_andn2_b64 exec, exec, s[28:29]
	s_cbranch_execnz .LBB0_7
.LBB0_8:
	s_or_b64 exec, exec, s[24:25]
	s_mov_b64 s[24:25], 0
.LBB0_9:
	s_andn2_b64 vcc, exec, s[24:25]
	s_cbranch_vccnz .LBB0_11
; %bb.10:
	v_mad_u64_u32 v[1:2], s[24:25], s16, v4, 0
	v_mul_lo_u32 v5, s20, v3
	v_mov_b32_e32 v6, 0
	v_mad_u64_u32 v[7:8], s[16:17], s17, v4, v[2:3]
	s_lshl_b64 s[16:17], s[26:27], 3
	s_add_u32 s3, s22, s16
	v_mov_b32_e32 v2, v7
	v_lshlrev_b64 v[1:2], 3, v[1:2]
	s_addc_u32 s11, s23, s17
	v_mov_b32_e32 v7, s11
	v_add_co_u32_e32 v21, vcc, s3, v1
	v_addc_co_u32_e32 v22, vcc, v7, v2, vcc
	v_lshlrev_b64 v[1:2], 3, v[5:6]
	s_lshl_b32 s3, s20, 2
	v_add_u32_e32 v5, s3, v5
	v_add_co_u32_e32 v1, vcc, v21, v1
	v_lshlrev_b64 v[7:8], 3, v[5:6]
	v_addc_co_u32_e32 v2, vcc, v22, v2, vcc
	v_add_u32_e32 v5, s3, v5
	v_add_co_u32_e32 v7, vcc, v21, v7
	v_lshlrev_b64 v[9:10], 3, v[5:6]
	v_addc_co_u32_e32 v8, vcc, v22, v8, vcc
	v_add_u32_e32 v5, s3, v5
	v_add_co_u32_e32 v9, vcc, v21, v9
	v_lshlrev_b64 v[11:12], 3, v[5:6]
	v_addc_co_u32_e32 v10, vcc, v22, v10, vcc
	v_add_co_u32_e32 v11, vcc, v21, v11
	v_add_u32_e32 v5, s3, v5
	v_addc_co_u32_e32 v12, vcc, v22, v12, vcc
	global_load_dwordx2 v[13:14], v[1:2], off
	global_load_dwordx2 v[15:16], v[7:8], off
	;; [unrolled: 1-line block ×4, first 2 shown]
	v_lshlrev_b64 v[1:2], 3, v[5:6]
	v_add_u32_e32 v5, s3, v5
	v_add_co_u32_e32 v1, vcc, v21, v1
	v_lshlrev_b64 v[7:8], 3, v[5:6]
	v_addc_co_u32_e32 v2, vcc, v22, v2, vcc
	v_add_u32_e32 v5, s3, v5
	v_add_co_u32_e32 v7, vcc, v21, v7
	v_lshlrev_b64 v[5:6], 3, v[5:6]
	v_addc_co_u32_e32 v8, vcc, v22, v8, vcc
	v_add_co_u32_e32 v5, vcc, v21, v5
	v_addc_co_u32_e32 v6, vcc, v22, v6, vcc
	global_load_dwordx2 v[9:10], v[1:2], off
	global_load_dwordx2 v[11:12], v[7:8], off
	;; [unrolled: 1-line block ×3, first 2 shown]
	v_mul_u32_u24_e32 v1, 0x188, v3
	v_lshlrev_b32_e32 v2, 3, v4
	v_add3_u32 v1, 0, v1, v2
	v_add_u32_e32 v2, 0xc00, v1
	v_add_u32_e32 v3, 0x1800, v1
	s_waitcnt vmcnt(5)
	ds_write2_b64 v1, v[13:14], v[15:16] offset1:196
	s_waitcnt vmcnt(3)
	ds_write2_b64 v2, v[17:18], v[19:20] offset0:8 offset1:204
	s_waitcnt vmcnt(1)
	ds_write2_b64 v3, v[9:10], v[11:12] offset0:16 offset1:212
	s_waitcnt vmcnt(0)
	ds_write_b64 v1, v[21:22] offset:9408
.LBB0_11:
	s_movk_i32 s3, 0x2493
	v_mul_u32_u24_sdwa v1, v0, s3 dst_sel:DWORD dst_unused:UNUSED_PAD src0_sel:WORD_0 src1_sel:DWORD
	v_add_u32_sdwa v1, s7, v1 dst_sel:DWORD dst_unused:UNUSED_PAD src0_sel:DWORD src1_sel:WORD_1
	v_lshrrev_b32_e32 v2, 2, v1
	s_mov_b32 s3, 0x24924925
	v_mul_hi_u32 v2, v2, s3
	v_mul_hi_u32 v3, v0, s3
	s_waitcnt lgkmcnt(0)
	s_barrier
	v_mul_lo_u32 v2, v2, 28
	v_mul_u32_u24_e32 v3, 7, v3
	v_sub_u32_e32 v15, v0, v3
	v_lshlrev_b32_e32 v10, 3, v15
	v_sub_u32_e32 v1, v1, v2
	v_mul_u32_u24_e32 v1, 49, v1
	v_lshlrev_b32_e32 v9, 3, v1
	v_add3_u32 v16, 0, v10, v9
	ds_read2_b64 v[1:4], v16 offset0:7 offset1:14
	ds_read2_b64 v[5:8], v16 offset0:35 offset1:42
	v_add3_u32 v17, 0, v9, v10
	s_mov_b32 s11, 0x3f3bfb3b
	s_mov_b32 s15, 0xbf3bfb3b
	;; [unrolled: 1-line block ×3, first 2 shown]
	s_waitcnt lgkmcnt(0)
	v_add_f32_e32 v11, v1, v7
	v_add_f32_e32 v12, v2, v8
	v_sub_f32_e32 v7, v1, v7
	v_sub_f32_e32 v8, v2, v8
	v_add_f32_e32 v13, v3, v5
	v_add_f32_e32 v14, v4, v6
	v_sub_f32_e32 v5, v3, v5
	v_sub_f32_e32 v6, v4, v6
	ds_read2_b64 v[1:4], v16 offset0:21 offset1:28
	v_add_f32_e32 v18, v13, v11
	v_add_f32_e32 v19, v14, v12
	v_sub_f32_e32 v20, v13, v11
	s_mov_b32 s16, 0xbeae86e6
	s_waitcnt lgkmcnt(0)
	v_add_f32_e32 v9, v1, v3
	v_add_f32_e32 v10, v2, v4
	v_sub_f32_e32 v3, v3, v1
	v_sub_f32_e32 v4, v4, v2
	ds_read_b64 v[1:2], v17
	v_add_f32_e32 v18, v9, v18
	v_add_f32_e32 v19, v10, v19
	v_sub_f32_e32 v11, v11, v9
	v_sub_f32_e32 v9, v9, v13
	;; [unrolled: 1-line block ×5, first 2 shown]
	v_add_f32_e32 v14, v3, v5
	s_waitcnt lgkmcnt(0)
	v_add_f32_e32 v1, v18, v1
	v_sub_f32_e32 v21, v3, v5
	v_sub_f32_e32 v3, v7, v3
	;; [unrolled: 1-line block ×3, first 2 shown]
	v_add_f32_e32 v7, v14, v7
	v_add_f32_e32 v14, v4, v6
	;; [unrolled: 1-line block ×3, first 2 shown]
	v_sub_f32_e32 v22, v4, v6
	v_sub_f32_e32 v4, v8, v4
	;; [unrolled: 1-line block ×3, first 2 shown]
	v_add_f32_e32 v8, v14, v8
	v_mov_b32_e32 v14, v1
	v_fmac_f32_e32 v14, 0xbf955555, v18
	v_mov_b32_e32 v18, v2
	v_fmac_f32_e32 v18, 0xbf955555, v19
	v_mul_f32_e32 v11, 0x3f4a47b2, v11
	v_mul_f32_e32 v19, 0x3d64c772, v9
	v_fma_f32 v19, v20, s11, -v19
	v_fma_f32 v20, v20, s15, -v11
	v_fmac_f32_e32 v11, 0x3d64c772, v9
	v_mul_f32_e32 v9, 0x3f4a47b2, v12
	v_mul_f32_e32 v12, 0x3d64c772, v10
	v_fma_f32 v12, v13, s11, -v12
	v_fma_f32 v13, v13, s15, -v9
	v_fmac_f32_e32 v9, 0x3d64c772, v10
	v_mul_f32_e32 v21, 0xbf08b237, v21
	v_mul_f32_e32 v10, 0x3f5ff5aa, v5
	v_fma_f32 v23, v5, s3, -v21
	v_fmac_f32_e32 v21, 0x3eae86e6, v3
	v_fma_f32 v10, v3, s16, -v10
	v_mul_f32_e32 v22, 0xbf08b237, v22
	v_mul_f32_e32 v3, 0x3f5ff5aa, v6
	v_fma_f32 v5, v6, s3, -v22
	v_fmac_f32_e32 v22, 0x3eae86e6, v4
	v_fma_f32 v24, v4, s16, -v3
	v_add_f32_e32 v25, v11, v14
	v_add_f32_e32 v6, v19, v14
	v_add_f32_e32 v11, v20, v14
	v_add_f32_e32 v14, v9, v18
	v_add_f32_e32 v9, v12, v18
	v_add_f32_e32 v12, v13, v18
	v_fmac_f32_e32 v21, 0x3ee1c552, v7
	v_fmac_f32_e32 v22, 0x3ee1c552, v8
	;; [unrolled: 1-line block ×6, first 2 shown]
	v_mad_u32_u24 v18, v15, 48, v16
	v_sub_f32_e32 v3, v6, v5
	v_add_f32_e32 v4, v23, v9
	v_add_f32_e32 v5, v5, v6
	v_sub_f32_e32 v6, v9, v23
	v_add_f32_e32 v7, v24, v11
	v_sub_f32_e32 v8, v12, v10
	v_sub_f32_e32 v9, v11, v24
	v_add_f32_e32 v10, v10, v12
	v_add_f32_e32 v11, v25, v22
	v_sub_f32_e32 v12, v14, v21
	v_sub_f32_e32 v13, v25, v22
	v_add_f32_e32 v14, v21, v14
	s_barrier
	ds_write_b64 v18, v[1:2]
	ds_write2_b64 v18, v[11:12], v[7:8] offset0:1 offset1:2
	ds_write2_b64 v18, v[3:4], v[5:6] offset0:3 offset1:4
	;; [unrolled: 1-line block ×3, first 2 shown]
	v_mul_u32_u24_e32 v1, 6, v15
	v_lshlrev_b32_e32 v13, 3, v1
	s_waitcnt lgkmcnt(0)
	s_barrier
	global_load_dwordx4 v[1:4], v13, s[12:13]
	global_load_dwordx4 v[5:8], v13, s[12:13] offset:16
	ds_read2_b64 v[9:12], v16 offset0:7 offset1:14
	s_waitcnt vmcnt(1) lgkmcnt(0)
	v_mul_f32_e32 v14, v2, v10
	v_fma_f32 v14, v1, v9, -v14
	v_mul_f32_e32 v9, v2, v9
	v_fmac_f32_e32 v9, v1, v10
	v_mul_f32_e32 v1, v4, v12
	v_fma_f32 v10, v3, v11, -v1
	v_mul_f32_e32 v11, v4, v11
	v_fmac_f32_e32 v11, v3, v12
	ds_read2_b64 v[1:4], v16 offset0:21 offset1:28
	s_waitcnt vmcnt(0) lgkmcnt(0)
	v_mul_f32_e32 v12, v6, v2
	v_fma_f32 v12, v5, v1, -v12
	v_mul_f32_e32 v15, v6, v1
	v_mul_f32_e32 v1, v8, v4
	;; [unrolled: 1-line block ×3, first 2 shown]
	v_fmac_f32_e32 v15, v5, v2
	v_fma_f32 v18, v7, v3, -v1
	v_fmac_f32_e32 v19, v7, v4
	global_load_dwordx4 v[1:4], v13, s[12:13] offset:32
	ds_read2_b64 v[5:8], v16 offset0:35 offset1:42
	s_waitcnt vmcnt(0) lgkmcnt(0)
	v_mul_f32_e32 v13, v2, v6
	v_fma_f32 v13, v1, v5, -v13
	v_mul_f32_e32 v5, v2, v5
	v_fmac_f32_e32 v5, v1, v6
	v_mul_f32_e32 v1, v4, v8
	v_fma_f32 v6, v3, v7, -v1
	ds_read_b64 v[1:2], v17
	v_mul_f32_e32 v4, v4, v7
	v_fmac_f32_e32 v4, v3, v8
	v_add_f32_e32 v3, v14, v6
	v_add_f32_e32 v8, v10, v13
	;; [unrolled: 1-line block ×3, first 2 shown]
	v_sub_f32_e32 v6, v14, v6
	v_sub_f32_e32 v4, v9, v4
	v_add_f32_e32 v9, v11, v5
	v_sub_f32_e32 v10, v10, v13
	v_sub_f32_e32 v5, v11, v5
	v_add_f32_e32 v11, v12, v18
	v_add_f32_e32 v13, v15, v19
	v_sub_f32_e32 v12, v18, v12
	v_sub_f32_e32 v14, v19, v15
	v_add_f32_e32 v15, v8, v3
	v_add_f32_e32 v17, v9, v7
	v_sub_f32_e32 v18, v8, v3
	v_sub_f32_e32 v3, v3, v11
	;; [unrolled: 1-line block ×3, first 2 shown]
	v_add_f32_e32 v11, v11, v15
	v_add_f32_e32 v15, v12, v10
	v_sub_f32_e32 v19, v9, v7
	v_sub_f32_e32 v7, v7, v13
	;; [unrolled: 1-line block ×3, first 2 shown]
	v_add_f32_e32 v13, v13, v17
	s_waitcnt lgkmcnt(0)
	v_add_f32_e32 v1, v11, v1
	v_sub_f32_e32 v17, v12, v10
	v_sub_f32_e32 v12, v6, v12
	;; [unrolled: 1-line block ×3, first 2 shown]
	v_add_f32_e32 v6, v15, v6
	v_add_f32_e32 v15, v14, v5
	;; [unrolled: 1-line block ×3, first 2 shown]
	v_sub_f32_e32 v20, v14, v5
	v_sub_f32_e32 v14, v4, v14
	;; [unrolled: 1-line block ×3, first 2 shown]
	v_add_f32_e32 v4, v15, v4
	v_mov_b32_e32 v15, v1
	v_fmac_f32_e32 v15, 0xbf955555, v11
	v_mov_b32_e32 v11, v2
	v_fmac_f32_e32 v11, 0xbf955555, v13
	v_mul_f32_e32 v3, 0x3f4a47b2, v3
	v_mul_f32_e32 v13, 0x3d64c772, v8
	v_fma_f32 v13, v18, s11, -v13
	v_fma_f32 v18, v18, s15, -v3
	v_fmac_f32_e32 v3, 0x3d64c772, v8
	v_mul_f32_e32 v7, 0x3f4a47b2, v7
	v_mul_f32_e32 v8, 0x3d64c772, v9
	v_fma_f32 v8, v19, s11, -v8
	v_fma_f32 v19, v19, s15, -v7
	v_fmac_f32_e32 v7, 0x3d64c772, v9
	v_mul_f32_e32 v17, 0xbf08b237, v17
	v_mul_f32_e32 v9, 0x3f5ff5aa, v10
	;; [unrolled: 1-line block ×3, first 2 shown]
	v_fma_f32 v10, v10, s3, -v17
	v_fmac_f32_e32 v17, 0x3eae86e6, v12
	v_fma_f32 v12, v12, s16, -v9
	v_mul_f32_e32 v9, 0x3f5ff5aa, v5
	v_fma_f32 v21, v5, s3, -v20
	v_fmac_f32_e32 v20, 0x3eae86e6, v14
	v_fma_f32 v14, v14, s16, -v9
	v_add_f32_e32 v22, v3, v15
	v_add_f32_e32 v23, v7, v11
	v_fmac_f32_e32 v17, 0x3ee1c552, v6
	v_fmac_f32_e32 v20, 0x3ee1c552, v4
	v_add_f32_e32 v7, v13, v15
	v_add_f32_e32 v8, v8, v11
	;; [unrolled: 1-line block ×4, first 2 shown]
	v_fmac_f32_e32 v10, 0x3ee1c552, v6
	v_fmac_f32_e32 v21, 0x3ee1c552, v4
	;; [unrolled: 1-line block ×4, first 2 shown]
	v_add_f32_e32 v3, v20, v22
	v_sub_f32_e32 v4, v23, v17
	s_mov_b32 s11, 0x924924a
	v_sub_f32_e32 v5, v7, v21
	v_add_f32_e32 v6, v10, v8
	v_add_f32_e32 v7, v21, v7
	v_sub_f32_e32 v8, v8, v10
	v_add_f32_e32 v9, v14, v13
	v_sub_f32_e32 v10, v15, v12
	v_sub_f32_e32 v11, v13, v14
	v_add_f32_e32 v12, v12, v15
	v_sub_f32_e32 v13, v22, v20
	v_add_f32_e32 v14, v17, v23
	s_barrier
	ds_write2_b64 v16, v[1:2], v[3:4] offset1:7
	ds_write2_b64 v16, v[9:10], v[5:6] offset0:14 offset1:21
	ds_write2_b64 v16, v[7:8], v[11:12] offset0:28 offset1:35
	ds_write_b64 v16, v[13:14] offset:336
	v_mul_hi_u32 v1, v0, s11
	s_mov_b32 s3, 0
	s_waitcnt lgkmcnt(0)
	s_barrier
	v_mul_u32_u24_e32 v2, 28, v1
	v_sub_u32_e32 v0, v0, v2
	v_add_u32_e32 v2, s7, v0
	v_cmp_gt_u32_e32 vcc, s2, v2
	s_or_b64 s[12:13], s[18:19], vcc
	s_and_saveexec_b64 s[16:17], s[12:13]
	s_cbranch_execz .LBB0_13
; %bb.12:
	v_mad_u64_u32 v[2:3], s[12:13], s8, v0, 0
	s_load_dwordx2 s[4:5], s[4:5], 0x60
	s_mul_i32 s2, s6, s14
	s_mul_i32 s6, s9, s7
	s_mul_hi_u32 s11, s8, s7
	s_add_i32 s13, s11, s6
	s_mul_i32 s12, s8, s7
	v_mad_u64_u32 v[3:4], s[6:7], s9, v0, v[3:4]
	s_mul_i32 s1, s1, s21
	s_mul_hi_u32 s6, s0, s21
	s_add_i32 s1, s6, s1
	s_lshl_b64 s[6:7], s[12:13], 3
	s_waitcnt lgkmcnt(0)
	s_add_u32 s4, s4, s6
	s_addc_u32 s5, s5, s7
	s_lshl_b64 s[2:3], s[2:3], 3
	s_mul_i32 s0, s0, s21
	s_add_u32 s2, s4, s2
	v_mul_lo_u32 v4, v1, s10
	v_mul_i32_i24_e32 v0, 0x188, v0
	v_lshlrev_b32_e32 v1, 3, v1
	s_addc_u32 s3, s5, s3
	s_lshl_b64 s[0:1], s[0:1], 3
	v_add3_u32 v8, 0, v0, v1
	s_add_u32 s0, s2, s0
	v_lshlrev_b64 v[0:1], 3, v[2:3]
	s_addc_u32 s1, s3, s1
	v_mov_b32_e32 v2, s1
	v_add_co_u32_e32 v9, vcc, s0, v0
	v_mov_b32_e32 v5, 0
	v_addc_co_u32_e32 v10, vcc, v2, v1, vcc
	ds_read2_b64 v[0:3], v8 offset1:7
	v_lshlrev_b64 v[6:7], 3, v[4:5]
	s_mul_i32 s0, s10, 7
	v_add_co_u32_e32 v6, vcc, v9, v6
	v_addc_co_u32_e32 v7, vcc, v10, v7, vcc
	v_add_u32_e32 v4, s0, v4
	s_waitcnt lgkmcnt(0)
	global_store_dwordx2 v[6:7], v[0:1], off
	v_lshlrev_b64 v[0:1], 3, v[4:5]
	v_add_u32_e32 v4, s0, v4
	v_add_co_u32_e32 v0, vcc, v9, v0
	v_addc_co_u32_e32 v1, vcc, v10, v1, vcc
	global_store_dwordx2 v[0:1], v[2:3], off
	ds_read2_b64 v[0:3], v8 offset0:14 offset1:21
	v_lshlrev_b64 v[6:7], 3, v[4:5]
	v_add_u32_e32 v4, s0, v4
	v_add_co_u32_e32 v6, vcc, v9, v6
	v_addc_co_u32_e32 v7, vcc, v10, v7, vcc
	s_waitcnt lgkmcnt(0)
	global_store_dwordx2 v[6:7], v[0:1], off
	v_lshlrev_b64 v[0:1], 3, v[4:5]
	v_add_u32_e32 v4, s0, v4
	v_add_co_u32_e32 v0, vcc, v9, v0
	v_addc_co_u32_e32 v1, vcc, v10, v1, vcc
	global_store_dwordx2 v[0:1], v[2:3], off
	ds_read2_b64 v[0:3], v8 offset0:28 offset1:35
	v_lshlrev_b64 v[6:7], 3, v[4:5]
	v_add_u32_e32 v4, s0, v4
	v_add_co_u32_e32 v6, vcc, v9, v6
	v_addc_co_u32_e32 v7, vcc, v10, v7, vcc
	s_waitcnt lgkmcnt(0)
	global_store_dwordx2 v[6:7], v[0:1], off
	v_lshlrev_b64 v[0:1], 3, v[4:5]
	v_add_u32_e32 v4, s0, v4
	v_add_co_u32_e32 v0, vcc, v9, v0
	v_addc_co_u32_e32 v1, vcc, v10, v1, vcc
	global_store_dwordx2 v[0:1], v[2:3], off
	ds_read_b64 v[0:1], v8 offset:336
	v_lshlrev_b64 v[2:3], 3, v[4:5]
	v_add_co_u32_e32 v2, vcc, v9, v2
	v_addc_co_u32_e32 v3, vcc, v10, v3, vcc
	s_waitcnt lgkmcnt(0)
	global_store_dwordx2 v[2:3], v[0:1], off
.LBB0_13:
	s_endpgm
	.section	.rodata,"a",@progbits
	.p2align	6, 0x0
	.amdhsa_kernel fft_rtc_fwd_len49_factors_7_7_wgs_196_tpt_7_sp_op_CI_CI_sbrc_xy_z_unaligned
		.amdhsa_group_segment_fixed_size 0
		.amdhsa_private_segment_fixed_size 0
		.amdhsa_kernarg_size 104
		.amdhsa_user_sgpr_count 6
		.amdhsa_user_sgpr_private_segment_buffer 1
		.amdhsa_user_sgpr_dispatch_ptr 0
		.amdhsa_user_sgpr_queue_ptr 0
		.amdhsa_user_sgpr_kernarg_segment_ptr 1
		.amdhsa_user_sgpr_dispatch_id 0
		.amdhsa_user_sgpr_flat_scratch_init 0
		.amdhsa_user_sgpr_private_segment_size 0
		.amdhsa_uses_dynamic_stack 0
		.amdhsa_system_sgpr_private_segment_wavefront_offset 0
		.amdhsa_system_sgpr_workgroup_id_x 1
		.amdhsa_system_sgpr_workgroup_id_y 0
		.amdhsa_system_sgpr_workgroup_id_z 0
		.amdhsa_system_sgpr_workgroup_info 0
		.amdhsa_system_vgpr_workitem_id 0
		.amdhsa_next_free_vgpr 26
		.amdhsa_next_free_sgpr 32
		.amdhsa_reserve_vcc 1
		.amdhsa_reserve_flat_scratch 0
		.amdhsa_float_round_mode_32 0
		.amdhsa_float_round_mode_16_64 0
		.amdhsa_float_denorm_mode_32 3
		.amdhsa_float_denorm_mode_16_64 3
		.amdhsa_dx10_clamp 1
		.amdhsa_ieee_mode 1
		.amdhsa_fp16_overflow 0
		.amdhsa_exception_fp_ieee_invalid_op 0
		.amdhsa_exception_fp_denorm_src 0
		.amdhsa_exception_fp_ieee_div_zero 0
		.amdhsa_exception_fp_ieee_overflow 0
		.amdhsa_exception_fp_ieee_underflow 0
		.amdhsa_exception_fp_ieee_inexact 0
		.amdhsa_exception_int_div_zero 0
	.end_amdhsa_kernel
	.text
.Lfunc_end0:
	.size	fft_rtc_fwd_len49_factors_7_7_wgs_196_tpt_7_sp_op_CI_CI_sbrc_xy_z_unaligned, .Lfunc_end0-fft_rtc_fwd_len49_factors_7_7_wgs_196_tpt_7_sp_op_CI_CI_sbrc_xy_z_unaligned
                                        ; -- End function
	.section	.AMDGPU.csdata,"",@progbits
; Kernel info:
; codeLenInByte = 2872
; NumSgprs: 36
; NumVgprs: 26
; ScratchSize: 0
; MemoryBound: 0
; FloatMode: 240
; IeeeMode: 1
; LDSByteSize: 0 bytes/workgroup (compile time only)
; SGPRBlocks: 4
; VGPRBlocks: 6
; NumSGPRsForWavesPerEU: 36
; NumVGPRsForWavesPerEU: 26
; Occupancy: 9
; WaveLimiterHint : 1
; COMPUTE_PGM_RSRC2:SCRATCH_EN: 0
; COMPUTE_PGM_RSRC2:USER_SGPR: 6
; COMPUTE_PGM_RSRC2:TRAP_HANDLER: 0
; COMPUTE_PGM_RSRC2:TGID_X_EN: 1
; COMPUTE_PGM_RSRC2:TGID_Y_EN: 0
; COMPUTE_PGM_RSRC2:TGID_Z_EN: 0
; COMPUTE_PGM_RSRC2:TIDIG_COMP_CNT: 0
	.type	__hip_cuid_6fc8461f8cd584b8,@object ; @__hip_cuid_6fc8461f8cd584b8
	.section	.bss,"aw",@nobits
	.globl	__hip_cuid_6fc8461f8cd584b8
__hip_cuid_6fc8461f8cd584b8:
	.byte	0                               ; 0x0
	.size	__hip_cuid_6fc8461f8cd584b8, 1

	.ident	"AMD clang version 19.0.0git (https://github.com/RadeonOpenCompute/llvm-project roc-6.4.0 25133 c7fe45cf4b819c5991fe208aaa96edf142730f1d)"
	.section	".note.GNU-stack","",@progbits
	.addrsig
	.addrsig_sym __hip_cuid_6fc8461f8cd584b8
	.amdgpu_metadata
---
amdhsa.kernels:
  - .args:
      - .actual_access:  read_only
        .address_space:  global
        .offset:         0
        .size:           8
        .value_kind:     global_buffer
      - .offset:         8
        .size:           8
        .value_kind:     by_value
      - .actual_access:  read_only
        .address_space:  global
        .offset:         16
        .size:           8
        .value_kind:     global_buffer
      - .actual_access:  read_only
        .address_space:  global
        .offset:         24
        .size:           8
        .value_kind:     global_buffer
      - .actual_access:  read_only
        .address_space:  global
        .offset:         32
        .size:           8
        .value_kind:     global_buffer
      - .offset:         40
        .size:           8
        .value_kind:     by_value
      - .actual_access:  read_only
        .address_space:  global
        .offset:         48
        .size:           8
        .value_kind:     global_buffer
      - .actual_access:  read_only
        .address_space:  global
        .offset:         56
        .size:           8
        .value_kind:     global_buffer
      - .offset:         64
        .size:           4
        .value_kind:     by_value
      - .actual_access:  read_only
        .address_space:  global
        .offset:         72
        .size:           8
        .value_kind:     global_buffer
      - .actual_access:  read_only
        .address_space:  global
        .offset:         80
        .size:           8
        .value_kind:     global_buffer
      - .actual_access:  read_only
        .address_space:  global
        .offset:         88
        .size:           8
        .value_kind:     global_buffer
      - .actual_access:  write_only
        .address_space:  global
        .offset:         96
        .size:           8
        .value_kind:     global_buffer
    .group_segment_fixed_size: 0
    .kernarg_segment_align: 8
    .kernarg_segment_size: 104
    .language:       OpenCL C
    .language_version:
      - 2
      - 0
    .max_flat_workgroup_size: 196
    .name:           fft_rtc_fwd_len49_factors_7_7_wgs_196_tpt_7_sp_op_CI_CI_sbrc_xy_z_unaligned
    .private_segment_fixed_size: 0
    .sgpr_count:     36
    .sgpr_spill_count: 0
    .symbol:         fft_rtc_fwd_len49_factors_7_7_wgs_196_tpt_7_sp_op_CI_CI_sbrc_xy_z_unaligned.kd
    .uniform_work_group_size: 1
    .uses_dynamic_stack: false
    .vgpr_count:     26
    .vgpr_spill_count: 0
    .wavefront_size: 64
amdhsa.target:   amdgcn-amd-amdhsa--gfx906
amdhsa.version:
  - 1
  - 2
...

	.end_amdgpu_metadata
